;; amdgpu-corpus repo=ROCm/rocm-libraries kind=compiled arch=gfx90a opt=O3
	.text
	.amdgcn_target "amdgcn-amd-amdhsa--gfx90a"
	.amdhsa_code_object_version 6
	.section	.text._Z18row_scatter_gatherILi8ELi256ELi256ELi8EiDF16_EvPKT3_S2_PKT4_PS3_iii,"axG",@progbits,_Z18row_scatter_gatherILi8ELi256ELi256ELi8EiDF16_EvPKT3_S2_PKT4_PS3_iii,comdat
	.protected	_Z18row_scatter_gatherILi8ELi256ELi256ELi8EiDF16_EvPKT3_S2_PKT4_PS3_iii ; -- Begin function _Z18row_scatter_gatherILi8ELi256ELi256ELi8EiDF16_EvPKT3_S2_PKT4_PS3_iii
	.globl	_Z18row_scatter_gatherILi8ELi256ELi256ELi8EiDF16_EvPKT3_S2_PKT4_PS3_iii
	.p2align	8
	.type	_Z18row_scatter_gatherILi8ELi256ELi256ELi8EiDF16_EvPKT3_S2_PKT4_PS3_iii,@function
_Z18row_scatter_gatherILi8ELi256ELi256ELi8EiDF16_EvPKT3_S2_PKT4_PS3_iii: ; @_Z18row_scatter_gatherILi8ELi256ELi256ELi8EiDF16_EvPKT3_S2_PKT4_PS3_iii
; %bb.0:
	s_load_dword s16, s[4:5], 0x28
	v_lshrrev_b32_e32 v0, 6, v0
	v_readfirstlane_b32 s0, v0
	s_waitcnt lgkmcnt(0)
	s_cmp_lt_i32 s16, 1
	s_cbranch_scc1 .LBB0_3
; %bb.1:
	v_mbcnt_lo_u32_b32 v0, -1, 0
	s_load_dwordx8 s[8:15], s[4:5], 0x0
	s_lshl_b32 s0, s0, 1
	s_lshl_b32 s1, s6, 3
	v_mbcnt_hi_u32_b32 v4, -1, v0
	s_add_i32 s0, s0, s1
	v_lshrrev_b32_e32 v0, 5, v4
	v_add_u32_e32 v0, s0, v0
	v_ashrrev_i32_e32 v1, 31, v0
	v_lshlrev_b64 v[0:1], 2, v[0:1]
	s_waitcnt lgkmcnt(0)
	v_mov_b32_e32 v3, s9
	v_add_co_u32_e32 v2, vcc, s8, v0
	v_addc_co_u32_e32 v3, vcc, v3, v1, vcc
	global_load_dword v2, v[2:3], off
	v_mov_b32_e32 v3, s11
	v_add_co_u32_e32 v0, vcc, s10, v0
	v_addc_co_u32_e32 v1, vcc, v3, v1, vcc
	global_load_dword v3, v[0:1], off
	s_load_dword s0, s[4:5], 0x20
	s_add_i32 s2, s16, -1
	s_ashr_i32 s6, s2, 31
	v_bfrev_b32_e32 v0, -2
	v_mov_b32_e32 v1, 0
	s_waitcnt lgkmcnt(0)
	s_add_i32 s9, s0, -1
	s_ashr_i32 s10, s9, 31
	s_mul_hi_u32 s11, s9, s16
	s_mul_i32 s10, s10, s16
	s_mul_i32 s9, s9, s16
	s_add_i32 s11, s11, s10
	s_add_u32 s2, s9, s2
	s_addc_u32 s6, s11, s6
	s_add_u32 s10, s2, 1
	s_addc_u32 s11, s6, 0
	v_cmp_lt_i64_e32 vcc, s[10:11], v[0:1]
	s_mov_b32 s0, s12
	s_mov_b32 s1, s13
	s_and_b64 s[12:13], vcc, exec
	v_and_b32_e32 v4, 31, v4
	s_cselect_b32 s2, s10, 0x7fffffff
	s_mov_b32 s3, 0x20000
	v_lshlrev_b32_e32 v4, 4, v4
	s_lshl_b32 s2, s2, 1
	s_mov_b32 s8, 0
	s_mov_b32 s7, s3
	;; [unrolled: 1-line block ×5, first 2 shown]
	s_waitcnt vmcnt(1)
	v_mul_lo_u32 v0, v2, s16
	v_lshl_add_u32 v0, v0, 1, v4
	s_waitcnt vmcnt(0)
	v_mul_lo_u32 v1, v3, s16
	v_lshl_add_u32 v1, v1, 1, v4
.LBB0_2:                                ; =>This Inner Loop Header: Depth=1
	buffer_load_dwordx4 v[2:5], v0, s[0:3], 0 offen
	s_addk_i32 s8, 0x100
	v_add_u32_e32 v0, 0x200, v0
	s_cmp_ge_i32 s8, s16
	s_waitcnt vmcnt(0)
	buffer_store_dwordx4 v[2:5], v1, s[4:7], 0 offen
	v_add_u32_e32 v1, 0x200, v1
	s_cbranch_scc0 .LBB0_2
.LBB0_3:
	s_endpgm
	.section	.rodata,"a",@progbits
	.p2align	6, 0x0
	.amdhsa_kernel _Z18row_scatter_gatherILi8ELi256ELi256ELi8EiDF16_EvPKT3_S2_PKT4_PS3_iii
		.amdhsa_group_segment_fixed_size 0
		.amdhsa_private_segment_fixed_size 0
		.amdhsa_kernarg_size 44
		.amdhsa_user_sgpr_count 6
		.amdhsa_user_sgpr_private_segment_buffer 1
		.amdhsa_user_sgpr_dispatch_ptr 0
		.amdhsa_user_sgpr_queue_ptr 0
		.amdhsa_user_sgpr_kernarg_segment_ptr 1
		.amdhsa_user_sgpr_dispatch_id 0
		.amdhsa_user_sgpr_flat_scratch_init 0
		.amdhsa_user_sgpr_kernarg_preload_length 0
		.amdhsa_user_sgpr_kernarg_preload_offset 0
		.amdhsa_user_sgpr_private_segment_size 0
		.amdhsa_uses_dynamic_stack 0
		.amdhsa_system_sgpr_private_segment_wavefront_offset 0
		.amdhsa_system_sgpr_workgroup_id_x 1
		.amdhsa_system_sgpr_workgroup_id_y 0
		.amdhsa_system_sgpr_workgroup_id_z 0
		.amdhsa_system_sgpr_workgroup_info 0
		.amdhsa_system_vgpr_workitem_id 0
		.amdhsa_next_free_vgpr 6
		.amdhsa_next_free_sgpr 17
		.amdhsa_accum_offset 8
		.amdhsa_reserve_vcc 1
		.amdhsa_reserve_flat_scratch 0
		.amdhsa_float_round_mode_32 0
		.amdhsa_float_round_mode_16_64 0
		.amdhsa_float_denorm_mode_32 3
		.amdhsa_float_denorm_mode_16_64 3
		.amdhsa_dx10_clamp 1
		.amdhsa_ieee_mode 1
		.amdhsa_fp16_overflow 0
		.amdhsa_tg_split 0
		.amdhsa_exception_fp_ieee_invalid_op 0
		.amdhsa_exception_fp_denorm_src 0
		.amdhsa_exception_fp_ieee_div_zero 0
		.amdhsa_exception_fp_ieee_overflow 0
		.amdhsa_exception_fp_ieee_underflow 0
		.amdhsa_exception_fp_ieee_inexact 0
		.amdhsa_exception_int_div_zero 0
	.end_amdhsa_kernel
	.section	.text._Z18row_scatter_gatherILi8ELi256ELi256ELi8EiDF16_EvPKT3_S2_PKT4_PS3_iii,"axG",@progbits,_Z18row_scatter_gatherILi8ELi256ELi256ELi8EiDF16_EvPKT3_S2_PKT4_PS3_iii,comdat
.Lfunc_end0:
	.size	_Z18row_scatter_gatherILi8ELi256ELi256ELi8EiDF16_EvPKT3_S2_PKT4_PS3_iii, .Lfunc_end0-_Z18row_scatter_gatherILi8ELi256ELi256ELi8EiDF16_EvPKT3_S2_PKT4_PS3_iii
                                        ; -- End function
	.section	.AMDGPU.csdata,"",@progbits
; Kernel info:
; codeLenInByte = 352
; NumSgprs: 21
; NumVgprs: 6
; NumAgprs: 0
; TotalNumVgprs: 6
; ScratchSize: 0
; MemoryBound: 0
; FloatMode: 240
; IeeeMode: 1
; LDSByteSize: 0 bytes/workgroup (compile time only)
; SGPRBlocks: 2
; VGPRBlocks: 0
; NumSGPRsForWavesPerEU: 21
; NumVGPRsForWavesPerEU: 6
; AccumOffset: 8
; Occupancy: 8
; WaveLimiterHint : 0
; COMPUTE_PGM_RSRC2:SCRATCH_EN: 0
; COMPUTE_PGM_RSRC2:USER_SGPR: 6
; COMPUTE_PGM_RSRC2:TRAP_HANDLER: 0
; COMPUTE_PGM_RSRC2:TGID_X_EN: 1
; COMPUTE_PGM_RSRC2:TGID_Y_EN: 0
; COMPUTE_PGM_RSRC2:TGID_Z_EN: 0
; COMPUTE_PGM_RSRC2:TIDIG_COMP_CNT: 0
; COMPUTE_PGM_RSRC3_GFX90A:ACCUM_OFFSET: 1
; COMPUTE_PGM_RSRC3_GFX90A:TG_SPLIT: 0
	.text
	.p2alignl 6, 3212836864
	.fill 256, 4, 3212836864
	.type	__hip_cuid_b20623a03b5044a5,@object ; @__hip_cuid_b20623a03b5044a5
	.section	.bss,"aw",@nobits
	.globl	__hip_cuid_b20623a03b5044a5
__hip_cuid_b20623a03b5044a5:
	.byte	0                               ; 0x0
	.size	__hip_cuid_b20623a03b5044a5, 1

	.ident	"AMD clang version 19.0.0git (https://github.com/RadeonOpenCompute/llvm-project roc-6.4.0 25133 c7fe45cf4b819c5991fe208aaa96edf142730f1d)"
	.section	".note.GNU-stack","",@progbits
	.addrsig
	.addrsig_sym __hip_cuid_b20623a03b5044a5
	.amdgpu_metadata
---
amdhsa.kernels:
  - .agpr_count:     0
    .args:
      - .address_space:  global
        .offset:         0
        .size:           8
        .value_kind:     global_buffer
      - .address_space:  global
        .offset:         8
        .size:           8
        .value_kind:     global_buffer
      - .address_space:  global
        .offset:         16
        .size:           8
        .value_kind:     global_buffer
      - .address_space:  global
        .offset:         24
        .size:           8
        .value_kind:     global_buffer
      - .offset:         32
        .size:           4
        .value_kind:     by_value
      - .offset:         36
        .size:           4
        .value_kind:     by_value
      - .offset:         40
        .size:           4
        .value_kind:     by_value
    .group_segment_fixed_size: 0
    .kernarg_segment_align: 8
    .kernarg_segment_size: 44
    .language:       OpenCL C
    .language_version:
      - 2
      - 0
    .max_flat_workgroup_size: 1024
    .name:           _Z18row_scatter_gatherILi8ELi256ELi256ELi8EiDF16_EvPKT3_S2_PKT4_PS3_iii
    .private_segment_fixed_size: 0
    .sgpr_count:     21
    .sgpr_spill_count: 0
    .symbol:         _Z18row_scatter_gatherILi8ELi256ELi256ELi8EiDF16_EvPKT3_S2_PKT4_PS3_iii.kd
    .uniform_work_group_size: 1
    .uses_dynamic_stack: false
    .vgpr_count:     6
    .vgpr_spill_count: 0
    .wavefront_size: 64
amdhsa.target:   amdgcn-amd-amdhsa--gfx90a
amdhsa.version:
  - 1
  - 2
...

	.end_amdgpu_metadata
